;; amdgpu-corpus repo=zjin-lcf/HeCBench kind=compiled arch=gfx1100 opt=O3
	.text
	.amdgcn_target "amdgcn-amd-amdhsa--gfx1100"
	.amdhsa_code_object_version 6
	.protected	_Z10insertionsPdPK13StructureAtomid ; -- Begin function _Z10insertionsPdPK13StructureAtomid
	.globl	_Z10insertionsPdPK13StructureAtomid
	.p2align	8
	.type	_Z10insertionsPdPK13StructureAtomid,@function
_Z10insertionsPdPK13StructureAtomid:    ; @_Z10insertionsPdPK13StructureAtomid
; %bb.0:
	s_clause 0x1
	s_load_b32 s33, s[0:1], 0x10
	s_load_b64 s[8:9], s[0:1], 0x0
	v_lshl_add_u32 v0, s15, 8, v0
	s_delay_alu instid0(VALU_DEP_1)
	v_ashrrev_i32_e32 v1, 31, v0
	s_waitcnt lgkmcnt(0)
	s_cmp_lt_i32 s33, 1
	s_cbranch_scc1 .LBB0_3
; %bb.1:
	v_mad_u64_u32 v[2:3], null, 0xe48e2825, v0, 1
	v_mul_lo_u32 v4, 0x26f19d38, v0
	v_mul_lo_u32 v5, 0xe48e2825, v1
	s_mov_b32 s2, 0xe48e2826
	s_mov_b32 s3, 0x26f19d38
	;; [unrolled: 1-line block ×7, first 2 shown]
	v_add3_u32 v6, v5, v3, v4
	v_mul_lo_u32 v5, 0x26f19d38, v2
	v_mad_u64_u32 v[3:4], null, 0xe48e2825, v2, 0
	s_mov_b32 s22, 0xcfa74449
	s_delay_alu instid0(VALU_DEP_3) | instskip(SKIP_4) | instid1(VALU_DEP_3)
	v_mul_lo_u32 v7, 0xe48e2825, v6
	v_and_b32_e32 v6, 0x7fffffff, v6
	s_mov_b32 s24, 0x71bf3c30
	s_mov_b32 s26, 0x1c7792ce
	;; [unrolled: 1-line block ×3, first 2 shown]
	v_mul_lo_u32 v8, 0x26f19d38, v3
	v_add_co_u32 v13, vcc_lo, v3, 1
	s_delay_alu instid0(VALU_DEP_4) | instskip(SKIP_1) | instid1(VALU_DEP_3)
	v_add3_u32 v7, v4, v5, v7
	v_mad_u64_u32 v[4:5], null, 0xe48e2825, v3, s[2:3]
	v_cvt_f64_u32_e32 v[13:14], v13
	s_clause 0x1
	s_load_b64 s[2:3], s[0:1], 0x8
	s_load_b64 s[10:11], s[0:1], 0x18
	v_mul_lo_u32 v9, 0xe48e2825, v7
	v_add_co_ci_u32_e32 v3, vcc_lo, 0, v7, vcc_lo
	s_mov_b32 s34, 0x9999999c
	v_cvt_f64_u32_e32 v[11:12], v4
	s_mov_b32 s36, 0xfefa39ef
	s_delay_alu instid0(VALU_DEP_2) | instskip(SKIP_1) | instid1(VALU_DEP_4)
	v_and_b32_e32 v3, 0x7fffffff, v3
	s_mov_b32 s38, 0x3b39803f
	v_add3_u32 v5, v9, v5, v8
	s_mov_b32 s42, 0xd5df274d
	s_mov_b32 s44, 0x652b82fe
	v_cvt_f64_u32_e32 v[7:8], v3
	v_cvt_f64_u32_e32 v[2:3], v2
	v_and_b32_e32 v9, 0x7fffffff, v5
	v_cvt_f64_u32_e32 v[5:6], v6
	s_mov_b32 s46, 0xfca7ab0c
	s_mov_b32 s48, 0x6a5dcb37
	;; [unrolled: 1-line block ×3, first 2 shown]
	v_cvt_f64_u32_e32 v[9:10], v9
	s_waitcnt lgkmcnt(0)
	s_add_u32 s28, s2, 16
	s_mov_b32 s52, 0x7c89e6b0
	s_mov_b32 s54, 0x14761f6e
	;; [unrolled: 1-line block ×16, first 2 shown]
	s_addc_u32 s29, s3, 0
	s_mov_b32 s31, 0x3fd24924
	s_mov_b32 s35, 0x3fd99999
	;; [unrolled: 1-line block ×15, first 2 shown]
	v_ldexp_f64 v[4:5], v[5:6], 32
	v_ldexp_f64 v[6:7], v[7:8], 32
	s_mov_b32 s61, 0x3fa55555
	s_mov_b32 s63, 0x3fc55555
	v_ldexp_f64 v[8:9], v[9:10], 32
	s_mov_b32 s65, 0x3fe00000
	s_mov_b32 s67, 0xbfe62e42
	;; [unrolled: 1-line block ×5, first 2 shown]
	s_delay_alu instid0(VALU_DEP_3) | instskip(NEXT) | instid1(VALU_DEP_3)
	v_add_f64 v[2:3], v[4:5], v[2:3]
	v_add_f64 v[4:5], v[6:7], v[13:14]
	s_delay_alu instid0(VALU_DEP_3) | instskip(NEXT) | instid1(VALU_DEP_3)
	v_add_f64 v[6:7], v[8:9], v[11:12]
	v_ldexp_f64 v[8:9], v[2:3], 0xffffffc1
	v_mov_b32_e32 v2, 0
	s_delay_alu instid0(VALU_DEP_4)
	v_ldexp_f64 v[10:11], v[4:5], 0xffffffc1
	v_mov_b32_e32 v3, 0
	v_ldexp_f64 v[12:13], v[6:7], 0xffffffc1
	v_mul_f64 v[6:7], s[10:11], 0.5
	v_mov_b32_e32 v4, 0
	v_mul_f64 v[8:9], v[8:9], s[10:11]
	v_mul_f64 v[10:11], v[10:11], s[10:11]
	;; [unrolled: 1-line block ×3, first 2 shown]
.LBB0_2:                                ; =>This Inner Loop Header: Depth=1
	s_add_u32 s0, s28, -16
	s_addc_u32 s1, s29, -1
	s_add_i32 s70, s70, 1
	s_load_b256 s[0:7], s[0:1], 0x0
	s_waitcnt lgkmcnt(0)
	s_delay_alu instid0(VALU_DEP_2) | instskip(NEXT) | instid1(VALU_DEP_4)
	v_add_f64 v[14:15], v[10:11], -s[2:3]
	v_add_f64 v[16:17], v[8:9], -s[0:1]
	s_delay_alu instid0(VALU_DEP_3) | instskip(NEXT) | instid1(VALU_DEP_3)
	v_add_f64 v[20:21], v[12:13], -s[4:5]
	v_add_f64 v[18:19], v[14:15], -s[10:11]
	v_cmp_gt_f64_e32 vcc_lo, v[14:15], v[6:7]
	s_delay_alu instid0(VALU_DEP_4) | instskip(SKIP_4) | instid1(VALU_DEP_4)
	v_add_f64 v[22:23], v[16:17], -s[10:11]
	v_cmp_gt_f64_e64 s0, v[16:17], v[6:7]
	v_add_f64 v[24:25], v[20:21], -s[10:11]
	v_cmp_nle_f64_e64 s1, v[20:21], -v[6:7]
	v_dual_cndmask_b32 v15, v15, v19 :: v_dual_cndmask_b32 v14, v14, v18
	v_cndmask_b32_e64 v17, v17, v23, s0
	v_cndmask_b32_e64 v16, v16, v22, s0
	s_delay_alu instid0(VALU_DEP_3) | instskip(SKIP_1) | instid1(VALU_DEP_3)
	v_add_f64 v[18:19], v[14:15], -s[10:11]
	v_cmp_nle_f64_e64 vcc_lo, v[14:15], -v[6:7]
	v_add_f64 v[22:23], v[16:17], -s[10:11]
	v_cmp_gt_f64_e64 s0, v[16:17], v[6:7]
	s_delay_alu instid0(VALU_DEP_4) | instskip(SKIP_2) | instid1(VALU_DEP_4)
	v_dual_cndmask_b32 v15, v19, v15 :: v_dual_cndmask_b32 v14, v18, v14
	v_cndmask_b32_e64 v19, v25, v21, s1
	v_cndmask_b32_e64 v18, v24, v20, s1
	;; [unrolled: 1-line block ×4, first 2 shown]
	v_mul_f64 v[14:15], v[14:15], v[14:15]
	s_load_b64 s[0:1], s[28:29], 0x10
	v_add_f64 v[20:21], v[18:19], -s[10:11]
	v_cmp_nle_f64_e64 vcc_lo, v[18:19], -v[6:7]
	s_delay_alu instid0(VALU_DEP_3) | instskip(NEXT) | instid1(VALU_DEP_3)
	v_fma_f64 v[14:15], v[16:17], v[16:17], v[14:15]
	v_dual_cndmask_b32 v17, v21, v19 :: v_dual_cndmask_b32 v16, v20, v18
	s_delay_alu instid0(VALU_DEP_1) | instskip(NEXT) | instid1(VALU_DEP_1)
	v_fma_f64 v[14:15], v[16:17], v[16:17], v[14:15]
	v_cmp_gt_f64_e32 vcc_lo, 0x10000000, v[14:15]
	v_cndmask_b32_e64 v5, 0, 1, vcc_lo
	s_delay_alu instid0(VALU_DEP_1) | instskip(NEXT) | instid1(VALU_DEP_1)
	v_lshlrev_b32_e32 v5, 8, v5
	v_ldexp_f64 v[14:15], v[14:15], v5
	v_cndmask_b32_e64 v5, 0, 0xffffff80, vcc_lo
	s_delay_alu instid0(VALU_DEP_2) | instskip(SKIP_4) | instid1(VALU_DEP_1)
	v_rsq_f64_e32 v[16:17], v[14:15]
	v_cmp_class_f64_e64 vcc_lo, v[14:15], 0x260
	s_waitcnt_depctr 0xfff
	v_mul_f64 v[18:19], v[14:15], v[16:17]
	v_mul_f64 v[16:17], v[16:17], 0.5
	v_fma_f64 v[20:21], -v[16:17], v[18:19], 0.5
	s_delay_alu instid0(VALU_DEP_1) | instskip(SKIP_1) | instid1(VALU_DEP_2)
	v_fma_f64 v[18:19], v[18:19], v[20:21], v[18:19]
	v_fma_f64 v[16:17], v[16:17], v[20:21], v[16:17]
	v_fma_f64 v[20:21], -v[18:19], v[18:19], v[14:15]
	s_delay_alu instid0(VALU_DEP_1) | instskip(NEXT) | instid1(VALU_DEP_1)
	v_fma_f64 v[18:19], v[20:21], v[16:17], v[18:19]
	v_fma_f64 v[20:21], -v[18:19], v[18:19], v[14:15]
	s_delay_alu instid0(VALU_DEP_1) | instskip(NEXT) | instid1(VALU_DEP_1)
	v_fma_f64 v[16:17], v[20:21], v[16:17], v[18:19]
	v_ldexp_f64 v[16:17], v[16:17], v5
	s_delay_alu instid0(VALU_DEP_1) | instskip(NEXT) | instid1(VALU_DEP_1)
	v_dual_cndmask_b32 v14, v16, v14 :: v_dual_cndmask_b32 v15, v17, v15
	v_div_scale_f64 v[16:17], null, v[14:15], v[14:15], 1.0
	v_div_scale_f64 v[22:23], vcc_lo, 1.0, v[14:15], 1.0
	s_delay_alu instid0(VALU_DEP_2) | instskip(SKIP_2) | instid1(VALU_DEP_1)
	v_rcp_f64_e32 v[18:19], v[16:17]
	s_waitcnt_depctr 0xfff
	v_fma_f64 v[20:21], -v[16:17], v[18:19], 1.0
	v_fma_f64 v[18:19], v[18:19], v[20:21], v[18:19]
	s_delay_alu instid0(VALU_DEP_1) | instskip(NEXT) | instid1(VALU_DEP_1)
	v_fma_f64 v[20:21], -v[16:17], v[18:19], 1.0
	v_fma_f64 v[18:19], v[18:19], v[20:21], v[18:19]
	s_delay_alu instid0(VALU_DEP_1) | instskip(NEXT) | instid1(VALU_DEP_1)
	v_mul_f64 v[20:21], v[22:23], v[18:19]
	v_fma_f64 v[16:17], -v[16:17], v[20:21], v[22:23]
	s_delay_alu instid0(VALU_DEP_1) | instskip(NEXT) | instid1(VALU_DEP_1)
	v_div_fmas_f64 v[16:17], v[16:17], v[18:19], v[20:21]
	v_div_fixup_f64 v[14:15], v[16:17], v[14:15], 1.0
	s_waitcnt lgkmcnt(0)
	s_delay_alu instid0(VALU_DEP_1) | instskip(NEXT) | instid1(VALU_DEP_1)
	v_mul_f64 v[14:15], s[0:1], v[14:15]
	v_frexp_mant_f64_e64 v[16:17], |v[14:15]|
	s_delay_alu instid0(VALU_DEP_1) | instskip(SKIP_1) | instid1(VALU_DEP_1)
	v_cmp_gt_f64_e32 vcc_lo, s[12:13], v[16:17]
	v_cndmask_b32_e64 v5, 0x3ff00000, 2.0, vcc_lo
	v_mul_f64 v[16:17], v[16:17], v[4:5]
	v_frexp_exp_i32_f64_e32 v5, v[14:15]
	s_delay_alu instid0(VALU_DEP_2) | instskip(SKIP_1) | instid1(VALU_DEP_3)
	v_add_f64 v[18:19], v[16:17], 1.0
	v_add_f64 v[24:25], v[16:17], -1.0
	v_subrev_co_ci_u32_e32 v5, vcc_lo, 0, v5, vcc_lo
	s_delay_alu instid0(VALU_DEP_3) | instskip(SKIP_1) | instid1(VALU_DEP_1)
	v_rcp_f64_e32 v[20:21], v[18:19]
	v_add_f64 v[26:27], v[18:19], -1.0
	v_add_f64 v[16:17], v[16:17], -v[26:27]
	s_waitcnt_depctr 0xfff
	v_fma_f64 v[22:23], -v[18:19], v[20:21], 1.0
	s_delay_alu instid0(VALU_DEP_1) | instskip(NEXT) | instid1(VALU_DEP_1)
	v_fma_f64 v[20:21], v[22:23], v[20:21], v[20:21]
	v_fma_f64 v[22:23], -v[18:19], v[20:21], 1.0
	s_delay_alu instid0(VALU_DEP_1) | instskip(NEXT) | instid1(VALU_DEP_1)
	v_fma_f64 v[20:21], v[22:23], v[20:21], v[20:21]
	v_mul_f64 v[22:23], v[24:25], v[20:21]
	s_delay_alu instid0(VALU_DEP_1) | instskip(NEXT) | instid1(VALU_DEP_1)
	v_mul_f64 v[28:29], v[18:19], v[22:23]
	v_fma_f64 v[18:19], v[22:23], v[18:19], -v[28:29]
	s_delay_alu instid0(VALU_DEP_1) | instskip(NEXT) | instid1(VALU_DEP_1)
	v_fma_f64 v[16:17], v[22:23], v[16:17], v[18:19]
	v_add_f64 v[18:19], v[28:29], v[16:17]
	s_delay_alu instid0(VALU_DEP_1) | instskip(SKIP_1) | instid1(VALU_DEP_2)
	v_add_f64 v[26:27], v[24:25], -v[18:19]
	v_add_f64 v[28:29], v[18:19], -v[28:29]
	;; [unrolled: 1-line block ×3, first 2 shown]
	s_delay_alu instid0(VALU_DEP_2) | instskip(NEXT) | instid1(VALU_DEP_2)
	v_add_f64 v[16:17], v[28:29], -v[16:17]
	v_add_f64 v[18:19], v[24:25], -v[18:19]
	s_delay_alu instid0(VALU_DEP_1) | instskip(NEXT) | instid1(VALU_DEP_1)
	v_add_f64 v[16:17], v[16:17], v[18:19]
	v_add_f64 v[16:17], v[26:27], v[16:17]
	s_delay_alu instid0(VALU_DEP_1) | instskip(NEXT) | instid1(VALU_DEP_1)
	v_mul_f64 v[16:17], v[20:21], v[16:17]
	v_add_f64 v[18:19], v[22:23], v[16:17]
	s_delay_alu instid0(VALU_DEP_1) | instskip(SKIP_1) | instid1(VALU_DEP_2)
	v_add_f64 v[20:21], v[18:19], -v[22:23]
	v_mul_f64 v[22:23], v[18:19], v[18:19]
	v_add_f64 v[16:17], v[16:17], -v[20:21]
	s_delay_alu instid0(VALU_DEP_2) | instskip(NEXT) | instid1(VALU_DEP_2)
	v_fma_f64 v[20:21], v[18:19], v[18:19], -v[22:23]
	v_add_f64 v[24:25], v[16:17], v[16:17]
	s_delay_alu instid0(VALU_DEP_1) | instskip(NEXT) | instid1(VALU_DEP_1)
	v_fma_f64 v[20:21], v[18:19], v[24:25], v[20:21]
	v_add_f64 v[24:25], v[22:23], v[20:21]
	s_delay_alu instid0(VALU_DEP_1) | instskip(SKIP_2) | instid1(VALU_DEP_3)
	v_fma_f64 v[26:27], v[24:25], s[16:17], s[14:15]
	v_add_f64 v[22:23], v[24:25], -v[22:23]
	v_mul_f64 v[30:31], v[18:19], v[24:25]
	v_fma_f64 v[26:27], v[24:25], v[26:27], s[18:19]
	s_delay_alu instid0(VALU_DEP_3) | instskip(NEXT) | instid1(VALU_DEP_3)
	v_add_f64 v[20:21], v[20:21], -v[22:23]
	v_fma_f64 v[34:35], v[24:25], v[18:19], -v[30:31]
	s_delay_alu instid0(VALU_DEP_3) | instskip(NEXT) | instid1(VALU_DEP_1)
	v_fma_f64 v[26:27], v[24:25], v[26:27], s[20:21]
	v_fma_f64 v[26:27], v[24:25], v[26:27], s[22:23]
	s_delay_alu instid0(VALU_DEP_1) | instskip(NEXT) | instid1(VALU_DEP_1)
	v_fma_f64 v[26:27], v[24:25], v[26:27], s[24:25]
	v_fma_f64 v[26:27], v[24:25], v[26:27], s[26:27]
	s_delay_alu instid0(VALU_DEP_1) | instskip(NEXT) | instid1(VALU_DEP_1)
	;; [unrolled: 3-line block ×3, first 2 shown]
	v_mul_f64 v[28:29], v[24:25], v[26:27]
	v_fma_f64 v[22:23], v[24:25], v[26:27], -v[28:29]
	v_fma_f64 v[24:25], v[24:25], v[16:17], v[34:35]
	v_ldexp_f64 v[16:17], v[16:17], 1
	s_delay_alu instid0(VALU_DEP_3) | instskip(NEXT) | instid1(VALU_DEP_3)
	v_fma_f64 v[22:23], v[20:21], v[26:27], v[22:23]
	v_fma_f64 v[20:21], v[20:21], v[18:19], v[24:25]
	v_ldexp_f64 v[18:19], v[18:19], 1
	s_delay_alu instid0(VALU_DEP_3) | instskip(NEXT) | instid1(VALU_DEP_3)
	v_add_f64 v[26:27], v[28:29], v[22:23]
	v_add_f64 v[24:25], v[30:31], v[20:21]
	s_delay_alu instid0(VALU_DEP_2) | instskip(SKIP_1) | instid1(VALU_DEP_3)
	v_add_f64 v[32:33], v[26:27], s[12:13]
	v_add_f64 v[28:29], v[26:27], -v[28:29]
	v_add_f64 v[30:31], v[24:25], -v[30:31]
	s_delay_alu instid0(VALU_DEP_3) | instskip(NEXT) | instid1(VALU_DEP_3)
	v_add_f64 v[36:37], v[32:33], s[40:41]
	v_add_f64 v[22:23], v[22:23], -v[28:29]
	s_delay_alu instid0(VALU_DEP_3) | instskip(NEXT) | instid1(VALU_DEP_3)
	v_add_f64 v[20:21], v[20:21], -v[30:31]
	v_add_f64 v[26:27], v[26:27], -v[36:37]
	s_delay_alu instid0(VALU_DEP_3) | instskip(NEXT) | instid1(VALU_DEP_1)
	v_add_f64 v[22:23], v[22:23], s[42:43]
	v_add_f64 v[22:23], v[22:23], v[26:27]
	s_delay_alu instid0(VALU_DEP_1) | instskip(NEXT) | instid1(VALU_DEP_1)
	v_add_f64 v[26:27], v[32:33], v[22:23]
	v_add_f64 v[28:29], v[32:33], -v[26:27]
	v_mul_f64 v[32:33], v[24:25], v[26:27]
	s_delay_alu instid0(VALU_DEP_2) | instskip(NEXT) | instid1(VALU_DEP_2)
	v_add_f64 v[22:23], v[22:23], v[28:29]
	v_fma_f64 v[28:29], v[24:25], v[26:27], -v[32:33]
	s_delay_alu instid0(VALU_DEP_1) | instskip(SKIP_1) | instid1(VALU_DEP_2)
	v_fma_f64 v[22:23], v[24:25], v[22:23], v[28:29]
	v_cvt_f64_i32_e32 v[24:25], v5
	v_fma_f64 v[20:21], v[20:21], v[26:27], v[22:23]
	s_delay_alu instid0(VALU_DEP_2) | instskip(NEXT) | instid1(VALU_DEP_2)
	v_mul_f64 v[30:31], v[24:25], s[36:37]
	v_add_f64 v[22:23], v[32:33], v[20:21]
	s_delay_alu instid0(VALU_DEP_1) | instskip(SKIP_1) | instid1(VALU_DEP_2)
	v_add_f64 v[26:27], v[18:19], v[22:23]
	v_add_f64 v[28:29], v[22:23], -v[32:33]
	v_add_f64 v[18:19], v[26:27], -v[18:19]
	s_delay_alu instid0(VALU_DEP_2) | instskip(SKIP_1) | instid1(VALU_DEP_3)
	v_add_f64 v[20:21], v[20:21], -v[28:29]
	v_fma_f64 v[28:29], v[24:25], s[36:37], -v[30:31]
	v_add_f64 v[18:19], v[22:23], -v[18:19]
	s_delay_alu instid0(VALU_DEP_3) | instskip(NEXT) | instid1(VALU_DEP_3)
	v_add_f64 v[16:17], v[16:17], v[20:21]
	v_fma_f64 v[20:21], v[24:25], s[38:39], v[28:29]
	s_delay_alu instid0(VALU_DEP_2) | instskip(NEXT) | instid1(VALU_DEP_2)
	v_add_f64 v[16:17], v[16:17], v[18:19]
	v_add_f64 v[18:19], v[30:31], v[20:21]
	s_delay_alu instid0(VALU_DEP_2) | instskip(NEXT) | instid1(VALU_DEP_2)
	v_add_f64 v[22:23], v[26:27], v[16:17]
	v_add_f64 v[30:31], v[18:19], -v[30:31]
	s_delay_alu instid0(VALU_DEP_2) | instskip(SKIP_1) | instid1(VALU_DEP_3)
	v_add_f64 v[24:25], v[18:19], v[22:23]
	v_add_f64 v[26:27], v[22:23], -v[26:27]
	v_add_f64 v[20:21], v[20:21], -v[30:31]
	s_delay_alu instid0(VALU_DEP_3) | instskip(NEXT) | instid1(VALU_DEP_3)
	v_add_f64 v[28:29], v[24:25], -v[18:19]
	v_add_f64 v[16:17], v[16:17], -v[26:27]
	s_delay_alu instid0(VALU_DEP_2) | instskip(SKIP_1) | instid1(VALU_DEP_3)
	v_add_f64 v[32:33], v[24:25], -v[28:29]
	v_add_f64 v[22:23], v[22:23], -v[28:29]
	v_add_f64 v[26:27], v[20:21], v[16:17]
	s_delay_alu instid0(VALU_DEP_3) | instskip(NEXT) | instid1(VALU_DEP_1)
	v_add_f64 v[18:19], v[18:19], -v[32:33]
	v_add_f64 v[18:19], v[22:23], v[18:19]
	s_delay_alu instid0(VALU_DEP_3) | instskip(NEXT) | instid1(VALU_DEP_2)
	v_add_f64 v[22:23], v[26:27], -v[20:21]
	v_add_f64 v[18:19], v[26:27], v[18:19]
	s_delay_alu instid0(VALU_DEP_2) | instskip(SKIP_1) | instid1(VALU_DEP_3)
	v_add_f64 v[26:27], v[26:27], -v[22:23]
	v_add_f64 v[16:17], v[16:17], -v[22:23]
	v_add_f64 v[28:29], v[24:25], v[18:19]
	s_delay_alu instid0(VALU_DEP_3) | instskip(NEXT) | instid1(VALU_DEP_2)
	v_add_f64 v[20:21], v[20:21], -v[26:27]
	v_add_f64 v[22:23], v[28:29], -v[24:25]
	s_delay_alu instid0(VALU_DEP_2) | instskip(NEXT) | instid1(VALU_DEP_2)
	v_add_f64 v[16:17], v[16:17], v[20:21]
	v_add_f64 v[18:19], v[18:19], -v[22:23]
	s_delay_alu instid0(VALU_DEP_1) | instskip(NEXT) | instid1(VALU_DEP_1)
	v_add_f64 v[16:17], v[16:17], v[18:19]
	v_add_f64 v[18:19], v[28:29], v[16:17]
	s_delay_alu instid0(VALU_DEP_1) | instskip(SKIP_1) | instid1(VALU_DEP_2)
	v_add_f64 v[20:21], v[18:19], -v[28:29]
	v_mul_f64 v[22:23], 0x40180000, v[18:19]
	v_add_f64 v[16:17], v[16:17], -v[20:21]
	s_delay_alu instid0(VALU_DEP_2) | instskip(SKIP_1) | instid1(VALU_DEP_2)
	v_fma_f64 v[18:19], 0x40180000, v[18:19], -v[22:23]
	v_cmp_class_f64_e64 vcc_lo, v[22:23], 0x204
	v_fma_f64 v[16:17], 0x40180000, v[16:17], v[18:19]
	s_delay_alu instid0(VALU_DEP_1) | instskip(NEXT) | instid1(VALU_DEP_1)
	v_add_f64 v[18:19], v[22:23], v[16:17]
	v_dual_cndmask_b32 v20, v18, v22 :: v_dual_cndmask_b32 v21, v19, v23
	v_add_f64 v[18:19], v[18:19], -v[22:23]
	s_delay_alu instid0(VALU_DEP_2)
	v_mul_f64 v[24:25], v[20:21], s[44:45]
	v_cmp_lt_f64_e32 vcc_lo, 0x40900000, v[20:21]
	v_cmp_neq_f64_e64 s0, 0x7ff00000, |v[20:21]|
	v_cmp_ngt_f64_e64 s1, 0xc090cc00, v[20:21]
	v_add_f64 v[16:17], v[16:17], -v[18:19]
	v_rndne_f64_e32 v[24:25], v[24:25]
	s_delay_alu instid0(VALU_DEP_2) | instskip(NEXT) | instid1(VALU_DEP_3)
	v_cndmask_b32_e64 v17, 0, v17, s0
	v_cndmask_b32_e64 v16, 0, v16, s0
	s_delay_alu instid0(VALU_DEP_3) | instskip(SKIP_1) | instid1(VALU_DEP_2)
	v_fma_f64 v[26:27], v[24:25], s[66:67], v[20:21]
	v_cvt_i32_f64_e32 v5, v[24:25]
	v_fma_f64 v[26:27], v[24:25], s[68:69], v[26:27]
	s_delay_alu instid0(VALU_DEP_1) | instskip(NEXT) | instid1(VALU_DEP_1)
	v_fma_f64 v[28:29], v[26:27], s[48:49], s[46:47]
	v_fma_f64 v[28:29], v[26:27], v[28:29], s[50:51]
	s_delay_alu instid0(VALU_DEP_1) | instskip(NEXT) | instid1(VALU_DEP_1)
	v_fma_f64 v[28:29], v[26:27], v[28:29], s[52:53]
	v_fma_f64 v[28:29], v[26:27], v[28:29], s[54:55]
	s_delay_alu instid0(VALU_DEP_1) | instskip(NEXT) | instid1(VALU_DEP_1)
	v_fma_f64 v[28:29], v[26:27], v[28:29], s[56:57]
	v_fma_f64 v[28:29], v[26:27], v[28:29], s[58:59]
	s_delay_alu instid0(VALU_DEP_1) | instskip(NEXT) | instid1(VALU_DEP_1)
	v_fma_f64 v[28:29], v[26:27], v[28:29], s[60:61]
	v_fma_f64 v[28:29], v[26:27], v[28:29], s[62:63]
	s_delay_alu instid0(VALU_DEP_1) | instskip(NEXT) | instid1(VALU_DEP_1)
	v_fma_f64 v[28:29], v[26:27], v[28:29], s[64:65]
	v_fma_f64 v[28:29], v[26:27], v[28:29], 1.0
	s_delay_alu instid0(VALU_DEP_1) | instskip(NEXT) | instid1(VALU_DEP_1)
	v_fma_f64 v[24:25], v[26:27], v[28:29], 1.0
	v_ldexp_f64 v[22:23], v[24:25], v5
	s_delay_alu instid0(VALU_DEP_1) | instskip(SKIP_1) | instid1(VALU_DEP_3)
	v_cndmask_b32_e64 v18, v23, 0x7ff00000, vcc_lo
	v_and_b32_e32 v23, 0x7fffffff, v23
	v_cndmask_b32_e64 v5, v22, 0, vcc_lo
	s_delay_alu instid0(VALU_DEP_3) | instskip(NEXT) | instid1(VALU_DEP_3)
	v_cndmask_b32_e64 v19, 0, v18, s1
	v_cmp_eq_f64_e64 s0, 0x7ff00000, v[22:23]
	s_delay_alu instid0(VALU_DEP_3) | instskip(NEXT) | instid1(VALU_DEP_1)
	v_cndmask_b32_e64 v18, 0, v5, s1
	v_fma_f64 v[16:17], v[18:19], v[16:17], v[18:19]
	s_delay_alu instid0(VALU_DEP_3) | instskip(NEXT) | instid1(SALU_CYCLE_1)
	s_or_b32 s0, vcc_lo, s0
	s_and_b32 vcc_lo, s1, s0
	v_cmp_neq_f64_e64 s0, 0x7ff00000, |v[14:15]|
	v_cmp_neq_f64_e64 s1, 0, v[14:15]
	s_delay_alu instid0(VALU_DEP_3) | instskip(SKIP_1) | instid1(VALU_DEP_2)
	v_dual_cndmask_b32 v5, v17, v19 :: v_dual_cndmask_b32 v14, v16, v18
	v_mul_f64 v[16:17], s[6:7], 4.0
	v_and_b32_e32 v5, 0x7fffffff, v5
	s_delay_alu instid0(VALU_DEP_1)
	v_cndmask_b32_e64 v5, 0x7ff00000, v5, s0
	s_and_b32 vcc_lo, s1, s0
	s_add_u32 s28, s28, 40
	v_cndmask_b32_e32 v14, 0, v14, vcc_lo
	s_addc_u32 s29, s29, 0
	v_cndmask_b32_e64 v15, 0, v5, s1
	s_cmp_lt_i32 s70, s33
	s_delay_alu instid0(VALU_DEP_1) | instskip(NEXT) | instid1(VALU_DEP_1)
	v_fma_f64 v[14:15], v[14:15], v[14:15], -v[14:15]
	v_fma_f64 v[2:3], v[16:17], v[14:15], v[2:3]
	s_cbranch_scc1 .LBB0_2
	s_branch .LBB0_4
.LBB0_3:
	v_mov_b32_e32 v2, 0
	v_mov_b32_e32 v3, 0
.LBB0_4:
	s_mov_b32 s0, 0xdd2f1aa0
	s_mov_b32 s1, 0xc0a35b24
	;; [unrolled: 1-line block ×3, first 2 shown]
	s_delay_alu instid0(VALU_DEP_1) | instskip(SKIP_3) | instid1(VALU_DEP_3)
	v_div_scale_f64 v[4:5], null, s[0:1], s[0:1], v[2:3]
	v_div_scale_f64 v[10:11], vcc_lo, v[2:3], s[0:1], v[2:3]
	s_mov_b32 s3, 0x3e5ade15
	v_lshlrev_b64 v[0:1], 3, v[0:1]
	v_rcp_f64_e32 v[6:7], v[4:5]
	s_waitcnt_depctr 0xfff
	v_fma_f64 v[8:9], -v[4:5], v[6:7], 1.0
	s_delay_alu instid0(VALU_DEP_1) | instskip(NEXT) | instid1(VALU_DEP_1)
	v_fma_f64 v[6:7], v[6:7], v[8:9], v[6:7]
	v_fma_f64 v[8:9], -v[4:5], v[6:7], 1.0
	s_delay_alu instid0(VALU_DEP_1) | instskip(NEXT) | instid1(VALU_DEP_1)
	v_fma_f64 v[6:7], v[6:7], v[8:9], v[6:7]
	v_mul_f64 v[8:9], v[10:11], v[6:7]
	s_delay_alu instid0(VALU_DEP_1) | instskip(NEXT) | instid1(VALU_DEP_1)
	v_fma_f64 v[4:5], -v[4:5], v[8:9], v[10:11]
	v_div_fmas_f64 v[4:5], v[4:5], v[6:7], v[8:9]
	s_delay_alu instid0(VALU_DEP_1)
	v_div_fixup_f64 v[2:3], v[4:5], s[0:1], v[2:3]
	s_mov_b32 s0, 0x652b82fe
	s_mov_b32 s1, 0x3ff71547
	s_delay_alu instid0(VALU_DEP_1) | instid1(SALU_CYCLE_1)
	v_mul_f64 v[4:5], v[2:3], s[0:1]
	s_mov_b32 s0, 0xfefa39ef
	s_mov_b32 s1, 0xbfe62e42
	v_cmp_nlt_f64_e32 vcc_lo, 0x40900000, v[2:3]
	s_delay_alu instid0(VALU_DEP_2) | instskip(NEXT) | instid1(VALU_DEP_1)
	v_rndne_f64_e32 v[4:5], v[4:5]
	v_fma_f64 v[6:7], v[4:5], s[0:1], v[2:3]
	s_mov_b32 s0, 0x3b39803f
	s_mov_b32 s1, 0xbc7abc9e
	v_cvt_i32_f64_e32 v10, v[4:5]
	s_delay_alu instid0(VALU_DEP_2)
	v_fma_f64 v[6:7], v[4:5], s[0:1], v[6:7]
	s_mov_b32 s0, 0xfca7ab0c
	s_mov_b32 s1, 0x3e928af3
	s_delay_alu instid0(VALU_DEP_1) | instid1(SALU_CYCLE_1)
	v_fma_f64 v[8:9], v[6:7], s[2:3], s[0:1]
	s_mov_b32 s0, 0x623fde64
	s_mov_b32 s1, 0x3ec71dee
	s_delay_alu instid0(VALU_DEP_1) | instid1(SALU_CYCLE_1)
	;; [unrolled: 4-line block ×9, first 2 shown]
	v_fma_f64 v[8:9], v[6:7], v[8:9], s[0:1]
	v_cmp_ngt_f64_e64 s0, 0xc090cc00, v[2:3]
	s_delay_alu instid0(VALU_DEP_2) | instskip(NEXT) | instid1(VALU_DEP_1)
	v_fma_f64 v[8:9], v[6:7], v[8:9], 1.0
	v_fma_f64 v[4:5], v[6:7], v[8:9], 1.0
	s_delay_alu instid0(VALU_DEP_1) | instskip(NEXT) | instid1(VALU_DEP_1)
	v_ldexp_f64 v[4:5], v[4:5], v10
	v_cndmask_b32_e32 v5, 0x7ff00000, v5, vcc_lo
	s_and_b32 vcc_lo, s0, vcc_lo
	s_delay_alu instid0(VALU_DEP_2) | instskip(SKIP_1) | instid1(VALU_DEP_3)
	v_cndmask_b32_e32 v2, 0, v4, vcc_lo
	v_add_co_u32 v0, vcc_lo, s8, v0
	v_cndmask_b32_e64 v3, 0, v5, s0
	v_add_co_ci_u32_e32 v1, vcc_lo, s9, v1, vcc_lo
	global_store_b64 v[0:1], v[2:3], off
	s_nop 0
	s_sendmsg sendmsg(MSG_DEALLOC_VGPRS)
	s_endpgm
	.section	.rodata,"a",@progbits
	.p2align	6, 0x0
	.amdhsa_kernel _Z10insertionsPdPK13StructureAtomid
		.amdhsa_group_segment_fixed_size 0
		.amdhsa_private_segment_fixed_size 0
		.amdhsa_kernarg_size 32
		.amdhsa_user_sgpr_count 15
		.amdhsa_user_sgpr_dispatch_ptr 0
		.amdhsa_user_sgpr_queue_ptr 0
		.amdhsa_user_sgpr_kernarg_segment_ptr 1
		.amdhsa_user_sgpr_dispatch_id 0
		.amdhsa_user_sgpr_private_segment_size 0
		.amdhsa_wavefront_size32 1
		.amdhsa_uses_dynamic_stack 0
		.amdhsa_enable_private_segment 0
		.amdhsa_system_sgpr_workgroup_id_x 1
		.amdhsa_system_sgpr_workgroup_id_y 0
		.amdhsa_system_sgpr_workgroup_id_z 0
		.amdhsa_system_sgpr_workgroup_info 0
		.amdhsa_system_vgpr_workitem_id 0
		.amdhsa_next_free_vgpr 38
		.amdhsa_next_free_sgpr 71
		.amdhsa_reserve_vcc 1
		.amdhsa_float_round_mode_32 0
		.amdhsa_float_round_mode_16_64 0
		.amdhsa_float_denorm_mode_32 3
		.amdhsa_float_denorm_mode_16_64 3
		.amdhsa_dx10_clamp 1
		.amdhsa_ieee_mode 1
		.amdhsa_fp16_overflow 0
		.amdhsa_workgroup_processor_mode 1
		.amdhsa_memory_ordered 1
		.amdhsa_forward_progress 0
		.amdhsa_shared_vgpr_count 0
		.amdhsa_exception_fp_ieee_invalid_op 0
		.amdhsa_exception_fp_denorm_src 0
		.amdhsa_exception_fp_ieee_div_zero 0
		.amdhsa_exception_fp_ieee_overflow 0
		.amdhsa_exception_fp_ieee_underflow 0
		.amdhsa_exception_fp_ieee_inexact 0
		.amdhsa_exception_int_div_zero 0
	.end_amdhsa_kernel
	.text
.Lfunc_end0:
	.size	_Z10insertionsPdPK13StructureAtomid, .Lfunc_end0-_Z10insertionsPdPK13StructureAtomid
                                        ; -- End function
	.section	.AMDGPU.csdata,"",@progbits
; Kernel info:
; codeLenInByte = 3596
; NumSgprs: 73
; NumVgprs: 38
; ScratchSize: 0
; MemoryBound: 0
; FloatMode: 240
; IeeeMode: 1
; LDSByteSize: 0 bytes/workgroup (compile time only)
; SGPRBlocks: 9
; VGPRBlocks: 4
; NumSGPRsForWavesPerEU: 73
; NumVGPRsForWavesPerEU: 38
; Occupancy: 16
; WaveLimiterHint : 0
; COMPUTE_PGM_RSRC2:SCRATCH_EN: 0
; COMPUTE_PGM_RSRC2:USER_SGPR: 15
; COMPUTE_PGM_RSRC2:TRAP_HANDLER: 0
; COMPUTE_PGM_RSRC2:TGID_X_EN: 1
; COMPUTE_PGM_RSRC2:TGID_Y_EN: 0
; COMPUTE_PGM_RSRC2:TGID_Z_EN: 0
; COMPUTE_PGM_RSRC2:TIDIG_COMP_CNT: 0
	.text
	.p2alignl 7, 3214868480
	.fill 96, 4, 3214868480
	.type	__hip_cuid_6cf29f7b020d3e7b,@object ; @__hip_cuid_6cf29f7b020d3e7b
	.section	.bss,"aw",@nobits
	.globl	__hip_cuid_6cf29f7b020d3e7b
__hip_cuid_6cf29f7b020d3e7b:
	.byte	0                               ; 0x0
	.size	__hip_cuid_6cf29f7b020d3e7b, 1

	.ident	"AMD clang version 19.0.0git (https://github.com/RadeonOpenCompute/llvm-project roc-6.4.0 25133 c7fe45cf4b819c5991fe208aaa96edf142730f1d)"
	.section	".note.GNU-stack","",@progbits
	.addrsig
	.addrsig_sym __hip_cuid_6cf29f7b020d3e7b
	.amdgpu_metadata
---
amdhsa.kernels:
  - .args:
      - .actual_access:  write_only
        .address_space:  global
        .offset:         0
        .size:           8
        .value_kind:     global_buffer
      - .actual_access:  read_only
        .address_space:  global
        .offset:         8
        .size:           8
        .value_kind:     global_buffer
      - .offset:         16
        .size:           4
        .value_kind:     by_value
      - .offset:         24
        .size:           8
        .value_kind:     by_value
    .group_segment_fixed_size: 0
    .kernarg_segment_align: 8
    .kernarg_segment_size: 32
    .language:       OpenCL C
    .language_version:
      - 2
      - 0
    .max_flat_workgroup_size: 1024
    .name:           _Z10insertionsPdPK13StructureAtomid
    .private_segment_fixed_size: 0
    .sgpr_count:     73
    .sgpr_spill_count: 0
    .symbol:         _Z10insertionsPdPK13StructureAtomid.kd
    .uniform_work_group_size: 1
    .uses_dynamic_stack: false
    .vgpr_count:     38
    .vgpr_spill_count: 0
    .wavefront_size: 32
    .workgroup_processor_mode: 1
amdhsa.target:   amdgcn-amd-amdhsa--gfx1100
amdhsa.version:
  - 1
  - 2
...

	.end_amdgpu_metadata
